;; amdgpu-corpus repo=zjin-lcf/HeCBench kind=compiled arch=gfx1250 opt=O3
	.amdgcn_target "amdgcn-amd-amdhsa--gfx1250"
	.amdhsa_code_object_version 6
	.text
	.protected	_Z17StringSearchNaivePKhjS0_jPjS1_j ; -- Begin function _Z17StringSearchNaivePKhjS0_jPjS1_j
	.globl	_Z17StringSearchNaivePKhjS0_jPjS1_j
	.p2align	8
	.type	_Z17StringSearchNaivePKhjS0_jPjS1_j,@function
_Z17StringSearchNaivePKhjS0_jPjS1_j:    ; @_Z17StringSearchNaivePKhjS0_jPjS1_j
; %bb.0:
	s_clause 0x2
	s_load_b32 s2, s[0:1], 0x8
	s_load_b32 s11, s[0:1], 0x18
	;; [unrolled: 1-line block ×3, first 2 shown]
	s_bfe_u32 s3, ttmp6, 0x4000c
	s_and_b32 s4, ttmp6, 15
	s_add_co_i32 s3, s3, 1
	s_getreg_b32 s5, hwreg(HW_REG_IB_STS2, 6, 4)
	s_mul_i32 s3, ttmp9, s3
	s_delay_alu instid0(SALU_CYCLE_1)
	s_add_co_i32 s4, s4, s3
	s_cmp_eq_u32 s5, 0
	s_cselect_b32 s10, ttmp9, s4
	s_wait_kmcnt 0x0
	s_sub_co_i32 s14, s2, s11
	s_mul_i32 s12, s13, s10
	s_add_co_i32 s14, s14, 1
	s_delay_alu instid0(SALU_CYCLE_1)
	s_cmp_gt_u32 s12, s14
	s_cbranch_scc1 .LBB0_30
; %bb.1:
	s_load_b32 s2, s[0:1], 0x44
	s_mov_b32 s4, exec_lo
	s_wait_kmcnt 0x0
	s_and_b32 s8, s2, 0xffff
	v_cmpx_gt_u32_e64 s11, v0
	s_cbranch_execz .LBB0_13
; %bb.2:
	s_load_b64 s[2:3], s[0:1], 0x10
	v_add_max_u32_e64 v1, v0, 1, s11
	s_and_b32 s5, s8, 0xffff
	s_mov_b32 s6, -1
	s_cmp_eq_u32 s5, 1
	s_delay_alu instid0(VALU_DEP_1) | instskip(SKIP_1) | instid1(VALU_DEP_1)
	v_dual_mov_b32 v2, v0 :: v_dual_sub_nc_u32 v1, v1, v0
	s_cselect_b32 s5, -1, 0
	v_cmp_lt_u32_e32 vcc_lo, 7, v1
	s_and_b32 s7, vcc_lo, s5
	s_delay_alu instid0(SALU_CYCLE_1)
	s_and_saveexec_b32 s5, s7
	s_cbranch_execz .LBB0_10
; %bb.3:
	v_dual_add_nc_u32 v6, -8, v1 :: v_dual_mov_b32 v2, 0
	s_mov_b32 s6, exec_lo
	s_delay_alu instid0(VALU_DEP_1)
	v_cmpx_lt_u32_e32 7, v6
	s_cbranch_execz .LBB0_7
; %bb.4:
	v_dual_lshrrev_b32 v2, 3, v6 :: v_dual_add_nc_u32 v8, 4, v0
	s_mov_b32 s7, 0
	s_mov_b32 s9, 0
	s_delay_alu instid0(VALU_DEP_1) | instskip(NEXT) | instid1(VALU_DEP_1)
	v_add_nc_u32_e32 v2, 1, v2
	v_and_b32_e32 v7, 0x3ffffffe, v2
.LBB0_5:                                ; =>This Inner Loop Header: Depth=1
	s_delay_alu instid0(VALU_DEP_1)
	v_dual_add_nc_u32 v4, s9, v0 :: v_dual_add_nc_u32 v7, -2, v7
	s_wait_kmcnt 0x0
	global_load_b64 v[2:3], v4, s[2:3]
	s_wait_xcnt 0x0
	v_add_nc_u32_e32 v4, 8, v4
	v_add_nc_u32_e32 v9, s9, v8
	s_add_co_i32 s9, s9, 16
	s_wait_loadcnt 0x0
	v_lshrrev_b32_e32 v10, 24, v2
	global_load_b64 v[4:5], v4, s[2:3]
	v_add_nc_u16 v15, 0xffbf, v3
	v_lshrrev_b16 v16, 8, v3
	v_add_nc_u16 v17, 0xffbf, v2
	v_dual_lshrrev_b32 v13, 24, v3 :: v_dual_lshrrev_b32 v14, 16, v3
	s_delay_alu instid0(VALU_DEP_4)
	v_and_b32_e32 v15, 0xff, v15
	v_add_nc_u16 v19, v3, 32
	v_add_nc_u16 v20, 0xffbf, v16
	v_and_b32_e32 v17, 0xff, v17
	v_add_nc_u16 v18, v2, 32
	v_cmp_gt_u16_e32 vcc_lo, 26, v15
	v_add_nc_u16 v21, 0xffbf, v14
	v_and_b32_e32 v20, 0xff, v20
	v_lshrrev_b32_e32 v11, 16, v2
	v_lshrrev_b16 v12, 8, v2
	v_cndmask_b32_e32 v3, v3, v19, vcc_lo
	v_cmp_gt_u16_e32 vcc_lo, 26, v17
	v_add_nc_u16 v22, 0xffbf, v13
	v_add_nc_u16 v31, v16, 32
	v_and_b32_e32 v21, 0xff, v21
	v_add_nc_u16 v23, 0xffbf, v12
	v_cndmask_b32_e32 v2, v2, v18, vcc_lo
	v_cmp_gt_u16_e32 vcc_lo, 26, v20
	v_add_nc_u16 v30, v14, 32
	v_and_b32_e32 v22, 0xff, v22
	v_add_nc_u16 v24, 0xffbf, v11
	v_add_nc_u16 v29, v13, 32
	v_cndmask_b32_e32 v16, v16, v31, vcc_lo
	v_cmp_gt_u16_e32 vcc_lo, 26, v21
	v_and_b32_e32 v23, 0xff, v23
	v_add_nc_u16 v25, 0xffbf, v10
	v_add_nc_u16 v28, v12, 32
	v_and_b32_e32 v24, 0xff, v24
	v_cndmask_b32_e32 v14, v14, v30, vcc_lo
	v_cmp_gt_u16_e32 vcc_lo, 26, v22
	v_add_nc_u16 v27, v11, 32
	v_and_b32_e32 v25, 0xff, v25
	v_add_nc_u16 v26, v10, 32
	v_cndmask_b32_e32 v13, v13, v29, vcc_lo
	v_cmp_gt_u16_e32 vcc_lo, 26, v23
	v_cndmask_b32_e32 v12, v12, v28, vcc_lo
	v_cmp_gt_u16_e32 vcc_lo, 26, v24
	s_delay_alu instid0(VALU_DEP_4) | instskip(NEXT) | instid1(VALU_DEP_3)
	v_lshlrev_b16 v13, 8, v13
	v_lshlrev_b16 v12, 8, v12
	v_cndmask_b32_e32 v11, v11, v27, vcc_lo
	v_cmp_gt_u16_e32 vcc_lo, 26, v25
	s_delay_alu instid0(VALU_DEP_4) | instskip(NEXT) | instid1(VALU_DEP_4)
	v_bitop3_b16 v13, v14, v13, 0xff bitop3:0xec
	v_bitop3_b16 v2, v2, v12, 0xff bitop3:0xec
	v_cndmask_b32_e32 v10, v10, v26, vcc_lo
	s_delay_alu instid0(VALU_DEP_2) | instskip(NEXT) | instid1(VALU_DEP_2)
	v_and_b32_e32 v2, 0xffff, v2
	v_lshlrev_b16 v10, 8, v10
	s_delay_alu instid0(VALU_DEP_1) | instskip(NEXT) | instid1(VALU_DEP_1)
	v_bitop3_b16 v10, v11, v10, 0xff bitop3:0xec
	v_dual_lshlrev_b32 v13, 16, v13 :: v_dual_lshlrev_b32 v10, 16, v10
	s_delay_alu instid0(VALU_DEP_1)
	v_dual_mov_b32 v2, s9 :: v_dual_bitop2_b32 v10, v2, v10 bitop3:0x54
	s_wait_loadcnt 0x0
	v_add_nc_u16 v38, 0xffbf, v5
	v_lshrrev_b16 v37, 8, v5
	v_add_nc_u16 v39, 0xffbf, v4
	v_dual_lshrrev_b32 v35, 24, v5 :: v_dual_lshrrev_b32 v36, 16, v5
	s_delay_alu instid0(VALU_DEP_4)
	v_and_b32_e32 v15, 0xff, v38
	v_add_nc_u16 v41, v5, 32
	v_add_nc_u16 v17, 0xffbf, v37
	v_and_b32_e32 v38, 0xff, v39
	v_add_nc_u16 v40, v4, 32
	v_cmp_gt_u16_e32 vcc_lo, 26, v15
	v_add_nc_u16 v18, 0xffbf, v36
	v_and_b32_e32 v17, 0xff, v17
	v_dual_lshrrev_b32 v32, 24, v4 :: v_dual_lshrrev_b32 v33, 16, v4
	v_cndmask_b32_e32 v5, v5, v41, vcc_lo
	v_cmp_gt_u16_e32 vcc_lo, 26, v38
	v_lshrrev_b16 v34, 8, v4
	v_add_nc_u16 v19, 0xffbf, v35
	v_add_nc_u16 v49, v37, 32
	v_and_b32_e32 v18, 0xff, v18
	s_wait_xcnt 0x0
	v_cndmask_b32_e32 v4, v4, v40, vcc_lo
	v_cmp_gt_u16_e32 vcc_lo, 26, v17
	v_add_nc_u16 v39, 0xffbf, v34
	v_add_nc_u16 v48, v36, 32
	v_and_b32_e32 v19, 0xff, v19
	v_lshlrev_b16 v15, 8, v16
	v_cndmask_b32_e32 v16, v37, v49, vcc_lo
	v_cmp_gt_u16_e32 vcc_lo, 26, v18
	v_add_nc_u16 v42, 0xffbf, v33
	v_add_nc_u16 v47, v35, 32
	v_and_b32_e32 v20, 0xff, v39
	v_add_nc_u16 v43, 0xffbf, v32
	v_cndmask_b32_e32 v17, v36, v48, vcc_lo
	v_cmp_gt_u16_e32 vcc_lo, 26, v19
	v_add_nc_u16 v46, v34, 32
	v_and_b32_e32 v21, 0xff, v42
	v_add_nc_u16 v45, v33, 32
	v_and_b32_e32 v22, 0xff, v43
	v_cndmask_b32_e32 v18, v35, v47, vcc_lo
	v_cmp_gt_u16_e32 vcc_lo, 26, v20
	v_add_nc_u16 v44, v32, 32
	v_bitop3_b16 v3, v3, v15, 0xff bitop3:0xec
	v_lshlrev_b16 v11, 8, v16
	v_cndmask_b32_e32 v19, v34, v46, vcc_lo
	v_cmp_gt_u16_e32 vcc_lo, 26, v21
	v_lshlrev_b16 v12, 8, v18
	s_delay_alu instid0(VALU_DEP_4)
	v_bitop3_b16 v5, v5, v11, 0xff bitop3:0xec
	v_and_b32_e32 v3, 0xffff, v3
	v_lshlrev_b16 v14, 8, v19
	v_cndmask_b32_e32 v20, v33, v45, vcc_lo
	v_cmp_gt_u16_e32 vcc_lo, 26, v22
	v_bitop3_b16 v11, v17, v12, 0xff bitop3:0xec
	v_and_b32_e32 v5, 0xffff, v5
	v_bitop3_b16 v4, v4, v14, 0xff bitop3:0xec
	v_cndmask_b32_e32 v21, v32, v44, vcc_lo
	v_cmp_eq_u32_e32 vcc_lo, 0, v7
	s_delay_alu instid0(VALU_DEP_3) | instskip(NEXT) | instid1(VALU_DEP_3)
	v_and_b32_e32 v4, 0xffff, v4
	v_lshlrev_b16 v15, 8, v21
	s_or_b32 s7, vcc_lo, s7
	s_delay_alu instid0(VALU_DEP_1) | instskip(SKIP_1) | instid1(VALU_DEP_1)
	v_bitop3_b16 v12, v20, v15, 0xff bitop3:0xec
	v_dual_lshlrev_b32 v14, 16, v11 :: v_dual_bitop2_b32 v11, v3, v13 bitop3:0x54
	v_dual_lshlrev_b32 v12, 16, v12 :: v_dual_bitop2_b32 v13, v5, v14 bitop3:0x54
	s_delay_alu instid0(VALU_DEP_1)
	v_or_b32_e32 v12, v4, v12
	ds_store_b128 v9, v[10:13]
	s_and_not1_b32 exec_lo, exec_lo, s7
	s_cbranch_execnz .LBB0_5
; %bb.6:
	s_or_b32 exec_lo, exec_lo, s7
.LBB0_7:
	s_delay_alu instid0(SALU_CYCLE_1) | instskip(SKIP_2) | instid1(VALU_DEP_1)
	s_or_b32 exec_lo, exec_lo, s6
	v_and_b32_e32 v3, 8, v6
	s_mov_b32 s6, exec_lo
	v_cmpx_eq_u32_e32 0, v3
	s_cbranch_execz .LBB0_9
; %bb.8:
	v_add_nc_u32_e32 v4, v0, v2
	s_wait_kmcnt 0x0
	global_load_b64 v[2:3], v4, s[2:3]
	s_wait_loadcnt 0x0
	v_add_nc_u16 v10, 0xffbf, v3
	v_lshrrev_b16 v11, 8, v3
	v_add_nc_u16 v12, 0xffbf, v2
	v_add_nc_u16 v14, v3, 32
	v_dual_lshrrev_b32 v6, 16, v2 :: v_dual_lshrrev_b32 v8, 24, v3
	v_and_b32_e32 v10, 0xff, v10
	v_add_nc_u16 v15, 0xffbf, v11
	v_and_b32_e32 v12, 0xff, v12
	v_add_nc_u16 v13, v2, 32
	v_lshrrev_b32_e32 v5, 24, v2
	v_cmp_gt_u16_e32 vcc_lo, 26, v10
	v_lshrrev_b32_e32 v9, 16, v3
	v_and_b32_e32 v15, 0xff, v15
	v_lshrrev_b16 v7, 8, v2
	v_add_nc_u16 v17, 0xffbf, v8
	v_cndmask_b32_e32 v3, v3, v14, vcc_lo
	v_add_nc_u16 v16, 0xffbf, v9
	v_cmp_gt_u16_e32 vcc_lo, 26, v12
	v_add_nc_u16 v26, v11, 32
	v_add_nc_u16 v18, 0xffbf, v7
	;; [unrolled: 1-line block ×3, first 2 shown]
	v_and_b32_e32 v16, 0xff, v16
	v_cndmask_b32_e32 v2, v2, v13, vcc_lo
	v_cmp_gt_u16_e32 vcc_lo, 26, v15
	v_and_b32_e32 v17, 0xff, v17
	v_add_nc_u16 v20, 0xffbf, v5
	v_add_nc_u16 v24, v8, 32
	v_and_b32_e32 v18, 0xff, v18
	v_cndmask_b32_e32 v10, v11, v26, vcc_lo
	v_cmp_gt_u16_e32 vcc_lo, 26, v16
	v_add_nc_u16 v19, 0xffbf, v6
	v_add_nc_u16 v23, v7, 32
	v_and_b32_e32 v20, 0xff, v20
	v_add_nc_u16 v21, v5, 32
	v_cndmask_b32_e32 v9, v9, v25, vcc_lo
	v_cmp_gt_u16_e32 vcc_lo, 26, v17
	v_and_b32_e32 v19, 0xff, v19
	v_add_nc_u16 v22, v6, 32
	v_lshlrev_b16 v10, 8, v10
	v_add_nc_u32_e32 v4, 4, v4
	v_cndmask_b32_e32 v8, v8, v24, vcc_lo
	v_cmp_gt_u16_e32 vcc_lo, 26, v18
	s_delay_alu instid0(VALU_DEP_4) | instskip(NEXT) | instid1(VALU_DEP_3)
	v_bitop3_b16 v3, v3, v10, 0xff bitop3:0xec
	v_lshlrev_b16 v8, 8, v8
	v_cndmask_b32_e32 v7, v7, v23, vcc_lo
	v_cmp_gt_u16_e32 vcc_lo, 26, v20
	s_delay_alu instid0(VALU_DEP_4) | instskip(NEXT) | instid1(VALU_DEP_4)
	v_and_b32_e32 v3, 0xffff, v3
	v_bitop3_b16 v8, v9, v8, 0xff bitop3:0xec
	v_cndmask_b32_e32 v5, v5, v21, vcc_lo
	v_cmp_gt_u16_e32 vcc_lo, 26, v19
	v_lshlrev_b16 v7, 8, v7
	s_delay_alu instid0(VALU_DEP_3) | instskip(SKIP_1) | instid1(VALU_DEP_3)
	v_lshlrev_b16 v5, 8, v5
	v_cndmask_b32_e32 v6, v6, v22, vcc_lo
	v_bitop3_b16 v2, v2, v7, 0xff bitop3:0xec
	s_delay_alu instid0(VALU_DEP_2) | instskip(NEXT) | instid1(VALU_DEP_2)
	v_bitop3_b16 v5, v6, v5, 0xff bitop3:0xec
	v_and_b32_e32 v2, 0xffff, v2
	s_delay_alu instid0(VALU_DEP_2) | instskip(NEXT) | instid1(VALU_DEP_1)
	v_dual_lshlrev_b32 v5, 16, v5 :: v_dual_lshlrev_b32 v6, 16, v8
	v_or_b32_e32 v2, v2, v5
	s_delay_alu instid0(VALU_DEP_2)
	v_or_b32_e32 v3, v3, v6
	ds_store_b64 v4, v[2:3]
.LBB0_9:
	s_or_b32 exec_lo, exec_lo, s6
	v_and_b32_e32 v2, -8, v1
	s_delay_alu instid0(VALU_DEP_1)
	v_cmp_ne_u32_e32 vcc_lo, v1, v2
	v_add_nc_u32_e32 v2, v0, v2
	s_or_not1_b32 s6, vcc_lo, exec_lo
.LBB0_10:
	s_or_b32 exec_lo, exec_lo, s5
	s_delay_alu instid0(SALU_CYCLE_1)
	s_and_b32 exec_lo, exec_lo, s6
	s_cbranch_execz .LBB0_13
; %bb.11:
	v_mov_b32_e32 v3, 0
	s_mov_b32 s9, 0
	s_wait_kmcnt 0x0
	s_delay_alu instid0(VALU_DEP_1)
	v_add_nc_u64_e32 v[4:5], s[2:3], v[2:3]
	s_mov_b32 s3, s9
.LBB0_12:                               ; =>This Inner Loop Header: Depth=1
	global_load_u8 v1, v[4:5], off
	v_dual_add_nc_u32 v6, 4, v2 :: v_dual_add_nc_u32 v2, s8, v2
	s_wait_xcnt 0x0
	v_add_nc_u64_e32 v[4:5], s[8:9], v[4:5]
	s_delay_alu instid0(VALU_DEP_2) | instskip(SKIP_4) | instid1(VALU_DEP_2)
	v_cmp_le_u32_e32 vcc_lo, s11, v2
	s_or_b32 s3, vcc_lo, s3
	s_wait_loadcnt 0x0
	v_add_nc_u16 v3, 0xffbf, v1
	v_add_nc_u16 v7, v1, 32
	v_and_b32_e32 v3, 0xff, v3
	s_delay_alu instid0(VALU_DEP_1) | instskip(NEXT) | instid1(VALU_DEP_1)
	v_cmp_gt_u16_e64 s2, 26, v3
	v_cndmask_b32_e64 v1, v1, v7, s2
	ds_store_b8 v6, v1
	s_and_not1_b32 exec_lo, exec_lo, s3
	s_cbranch_execnz .LBB0_12
.LBB0_13:
	s_or_b32 exec_lo, exec_lo, s4
	s_wait_kmcnt 0x0
	v_cmp_eq_u32_e64 s2, 0, v0
	s_and_saveexec_b32 s3, s2
; %bb.14:
	v_mov_b32_e32 v1, 0
	ds_store_b32 v1, v1
; %bb.15:
	s_or_b32 exec_lo, exec_lo, s3
	s_load_b128 s[4:7], s[0:1], 0x20
	v_add_nc_u32_e32 v0, s12, v0
	s_add_co_i32 s3, s12, s13
	s_mov_b32 s9, exec_lo
	s_min_u32 s3, s3, s14
	s_wait_dscnt 0x0
	s_barrier_signal -1
	s_barrier_wait -1
	v_cmpx_gt_u32_e64 s3, v0
	s_cbranch_execz .LBB0_28
; %bb.16:
	s_wait_xcnt 0x0
	s_load_b64 s[0:1], s[0:1], 0x0
	v_mov_b32_e32 v1, 0
	s_cmp_lg_u32 s11, 0
	s_mov_b32 s14, 0
	s_cselect_b32 s13, -1, 0
	s_branch .LBB0_19
.LBB0_17:                               ;   in Loop: Header=BB0_19 Depth=1
	s_or_b32 exec_lo, exec_lo, s16
	s_wait_dscnt 0x0
	v_readfirstlane_b32 s16, v3
	s_delay_alu instid0(VALU_DEP_1)
	v_add3_u32 v2, s12, s16, v2
	s_wait_kmcnt 0x0
	global_store_b32 v2, v0, s[4:5] scale_offset
.LBB0_18:                               ;   in Loop: Header=BB0_19 Depth=1
	s_wait_xcnt 0x0
	s_or_b32 exec_lo, exec_lo, s15
	v_add_nc_u32_e32 v0, s8, v0
	s_delay_alu instid0(VALU_DEP_1) | instskip(SKIP_1) | instid1(SALU_CYCLE_1)
	v_cmp_le_u32_e32 vcc_lo, s3, v0
	s_or_b32 s14, vcc_lo, s14
	s_and_not1_b32 exec_lo, exec_lo, s14
	s_cbranch_execz .LBB0_28
.LBB0_19:                               ; =>This Loop Header: Depth=1
                                        ;     Child Loop BB0_22 Depth 2
	s_and_not1_b32 vcc_lo, exec_lo, s13
	s_mov_b32 s16, -1
	s_cbranch_vccnz .LBB0_25
; %bb.20:                               ;   in Loop: Header=BB0_19 Depth=1
	s_wait_kmcnt 0x0
	v_add_nc_u64_e32 v[2:3], s[0:1], v[0:1]
	s_mov_b32 s17, 4
	s_mov_b32 s15, 0
	;; [unrolled: 1-line block ×3, first 2 shown]
                                        ; implicit-def: $sgpr16
                                        ; implicit-def: $sgpr20
                                        ; implicit-def: $sgpr19
	s_branch .LBB0_22
.LBB0_21:                               ;   in Loop: Header=BB0_22 Depth=2
	s_or_b32 exec_lo, exec_lo, s21
	s_xor_b32 s21, s19, -1
	s_and_b32 s22, exec_lo, s20
	s_delay_alu instid0(SALU_CYCLE_1) | instskip(SKIP_2) | instid1(SALU_CYCLE_1)
	s_or_b32 s15, s22, s15
	s_and_not1_b32 s16, s16, exec_lo
	s_and_b32 s21, s21, exec_lo
	s_or_b32 s16, s16, s21
	s_and_not1_b32 exec_lo, exec_lo, s15
	s_cbranch_execz .LBB0_24
.LBB0_22:                               ;   Parent Loop BB0_19 Depth=1
                                        ; =>  This Inner Loop Header: Depth=2
	global_load_u8 v4, v[2:3], off
	s_or_b32 s19, s19, exec_lo
	s_or_b32 s20, s20, exec_lo
	s_mov_b32 s21, exec_lo
	s_wait_loadcnt 0x0
	v_add_nc_u16 v6, 0xffbf, v4
	v_add_nc_u16 v7, v4, 32
	s_delay_alu instid0(VALU_DEP_2) | instskip(NEXT) | instid1(VALU_DEP_1)
	v_and_b32_e32 v6, 0xff, v6
	v_cmp_gt_u16_e32 vcc_lo, 26, v6
	s_delay_alu instid0(VALU_DEP_3) | instskip(SKIP_4) | instid1(VALU_DEP_1)
	v_dual_mov_b32 v5, s17 :: v_dual_cndmask_b32 v4, v4, v7
	ds_load_u8 v5, v5
	v_and_b32_e32 v4, 0xff, v4
	s_wait_dscnt 0x0
	s_wait_xcnt 0x0
	v_cmpx_eq_u16_e64 v4, v5
	s_cbranch_execz .LBB0_21
; %bb.23:                               ;   in Loop: Header=BB0_22 Depth=2
	s_add_co_i32 s18, s18, -1
	s_add_co_i32 s17, s17, 1
	s_cmp_eq_u32 s18, 0
	v_add_nc_u64_e32 v[2:3], 1, v[2:3]
	s_cselect_b32 s22, -1, 0
	s_and_not1_b32 s20, s20, exec_lo
	s_and_b32 s22, s22, exec_lo
	s_and_not1_b32 s19, s19, exec_lo
	s_or_b32 s20, s20, s22
	s_branch .LBB0_21
.LBB0_24:                               ;   in Loop: Header=BB0_19 Depth=1
	s_or_b32 exec_lo, exec_lo, s15
.LBB0_25:                               ;   in Loop: Header=BB0_19 Depth=1
	s_and_saveexec_b32 s15, s16
	s_cbranch_execz .LBB0_18
; %bb.26:                               ;   in Loop: Header=BB0_19 Depth=1
	s_mov_b32 s17, exec_lo
	s_mov_b32 s16, exec_lo
	v_mbcnt_lo_u32_b32 v2, s17, 0
                                        ; implicit-def: $vgpr3
	s_delay_alu instid0(VALU_DEP_1)
	v_cmpx_eq_u32_e32 0, v2
	s_cbranch_execz .LBB0_17
; %bb.27:                               ;   in Loop: Header=BB0_19 Depth=1
	s_bcnt1_i32_b32 s17, s17
	s_delay_alu instid0(SALU_CYCLE_1)
	v_mov_b32_e32 v3, s17
	ds_add_rtn_u32 v3, v1, v3
	s_branch .LBB0_17
.LBB0_28:
	s_or_b32 exec_lo, exec_lo, s9
	s_wait_storecnt 0x0
	s_barrier_signal -1
	s_barrier_wait -1
	s_wait_kmcnt 0x0
	s_and_saveexec_b32 s0, s2
	s_cbranch_execz .LBB0_30
; %bb.29:
	v_dual_mov_b32 v0, 0 :: v_dual_mov_b32 v1, s10
	ds_load_b32 v0, v0
	s_wait_dscnt 0x0
	global_store_b32 v1, v0, s[6:7] scale_offset
.LBB0_30:
	s_endpgm
	.section	.rodata,"a",@progbits
	.p2align	6, 0x0
	.amdhsa_kernel _Z17StringSearchNaivePKhjS0_jPjS1_j
		.amdhsa_group_segment_fixed_size 4
		.amdhsa_private_segment_fixed_size 0
		.amdhsa_kernarg_size 312
		.amdhsa_user_sgpr_count 2
		.amdhsa_user_sgpr_dispatch_ptr 0
		.amdhsa_user_sgpr_queue_ptr 0
		.amdhsa_user_sgpr_kernarg_segment_ptr 1
		.amdhsa_user_sgpr_dispatch_id 0
		.amdhsa_user_sgpr_kernarg_preload_length 0
		.amdhsa_user_sgpr_kernarg_preload_offset 0
		.amdhsa_user_sgpr_private_segment_size 0
		.amdhsa_wavefront_size32 1
		.amdhsa_uses_dynamic_stack 0
		.amdhsa_enable_private_segment 0
		.amdhsa_system_sgpr_workgroup_id_x 1
		.amdhsa_system_sgpr_workgroup_id_y 0
		.amdhsa_system_sgpr_workgroup_id_z 0
		.amdhsa_system_sgpr_workgroup_info 0
		.amdhsa_system_vgpr_workitem_id 0
		.amdhsa_next_free_vgpr 50
		.amdhsa_next_free_sgpr 23
		.amdhsa_named_barrier_count 0
		.amdhsa_reserve_vcc 1
		.amdhsa_float_round_mode_32 0
		.amdhsa_float_round_mode_16_64 0
		.amdhsa_float_denorm_mode_32 3
		.amdhsa_float_denorm_mode_16_64 3
		.amdhsa_fp16_overflow 0
		.amdhsa_memory_ordered 1
		.amdhsa_forward_progress 1
		.amdhsa_inst_pref_size 20
		.amdhsa_round_robin_scheduling 0
		.amdhsa_exception_fp_ieee_invalid_op 0
		.amdhsa_exception_fp_denorm_src 0
		.amdhsa_exception_fp_ieee_div_zero 0
		.amdhsa_exception_fp_ieee_overflow 0
		.amdhsa_exception_fp_ieee_underflow 0
		.amdhsa_exception_fp_ieee_inexact 0
		.amdhsa_exception_int_div_zero 0
	.end_amdhsa_kernel
	.text
.Lfunc_end0:
	.size	_Z17StringSearchNaivePKhjS0_jPjS1_j, .Lfunc_end0-_Z17StringSearchNaivePKhjS0_jPjS1_j
                                        ; -- End function
	.set _Z17StringSearchNaivePKhjS0_jPjS1_j.num_vgpr, 50
	.set _Z17StringSearchNaivePKhjS0_jPjS1_j.num_agpr, 0
	.set _Z17StringSearchNaivePKhjS0_jPjS1_j.numbered_sgpr, 23
	.set _Z17StringSearchNaivePKhjS0_jPjS1_j.num_named_barrier, 0
	.set _Z17StringSearchNaivePKhjS0_jPjS1_j.private_seg_size, 0
	.set _Z17StringSearchNaivePKhjS0_jPjS1_j.uses_vcc, 1
	.set _Z17StringSearchNaivePKhjS0_jPjS1_j.uses_flat_scratch, 0
	.set _Z17StringSearchNaivePKhjS0_jPjS1_j.has_dyn_sized_stack, 0
	.set _Z17StringSearchNaivePKhjS0_jPjS1_j.has_recursion, 0
	.set _Z17StringSearchNaivePKhjS0_jPjS1_j.has_indirect_call, 0
	.section	.AMDGPU.csdata,"",@progbits
; Kernel info:
; codeLenInByte = 2548
; TotalNumSgprs: 25
; NumVgprs: 50
; ScratchSize: 0
; MemoryBound: 0
; FloatMode: 240
; IeeeMode: 1
; LDSByteSize: 4 bytes/workgroup (compile time only)
; SGPRBlocks: 0
; VGPRBlocks: 3
; NumSGPRsForWavesPerEU: 25
; NumVGPRsForWavesPerEU: 50
; NamedBarCnt: 0
; Occupancy: 16
; WaveLimiterHint : 0
; COMPUTE_PGM_RSRC2:SCRATCH_EN: 0
; COMPUTE_PGM_RSRC2:USER_SGPR: 2
; COMPUTE_PGM_RSRC2:TRAP_HANDLER: 0
; COMPUTE_PGM_RSRC2:TGID_X_EN: 1
; COMPUTE_PGM_RSRC2:TGID_Y_EN: 0
; COMPUTE_PGM_RSRC2:TGID_Z_EN: 0
; COMPUTE_PGM_RSRC2:TIDIG_COMP_CNT: 0
	.text
	.protected	_Z23StringSearchLoadBalancePKhjS0_jPjS1_j ; -- Begin function _Z23StringSearchLoadBalancePKhjS0_jPjS1_j
	.globl	_Z23StringSearchLoadBalancePKhjS0_jPjS1_j
	.p2align	8
	.type	_Z23StringSearchLoadBalancePKhjS0_jPjS1_j,@function
_Z23StringSearchLoadBalancePKhjS0_jPjS1_j: ; @_Z23StringSearchLoadBalancePKhjS0_jPjS1_j
; %bb.0:
	v_cmp_eq_u32_e64 s2, 0, v0
	s_and_saveexec_b32 s3, s2
; %bb.1:
	v_mov_b32_e32 v2, 0
	s_delay_alu instid0(VALU_DEP_1)
	v_dual_mov_b32 v3, v2 :: v_dual_mov_b32 v4, v2
	ds_store_b96 v2, v[2:4] offset:4096
; %bb.2:
	s_or_b32 exec_lo, exec_lo, s3
	s_clause 0x2
	s_load_b32 s3, s[0:1], 0x8
	s_load_b32 s12, s[0:1], 0x18
	;; [unrolled: 1-line block ×3, first 2 shown]
	s_bfe_u32 s4, ttmp6, 0x4000c
	s_and_b32 s5, ttmp6, 15
	s_add_co_i32 s4, s4, 1
	s_getreg_b32 s6, hwreg(HW_REG_IB_STS2, 6, 4)
	s_mul_i32 s4, ttmp9, s4
	s_delay_alu instid0(SALU_CYCLE_1)
	s_add_co_i32 s5, s5, s4
	s_cmp_eq_u32 s6, 0
	s_cselect_b32 s14, ttmp9, s5
	s_wait_kmcnt 0x0
	s_sub_co_i32 s13, s3, s12
	s_mul_i32 s8, s9, s14
	s_add_co_i32 s13, s13, 1
	s_delay_alu instid0(SALU_CYCLE_1)
	s_cmp_gt_u32 s8, s13
	s_cbranch_scc1 .LBB1_49
; %bb.3:
	s_load_b32 s3, s[0:1], 0x44
	s_mov_b32 s6, exec_lo
	s_wait_kmcnt 0x0
	s_and_b32 s15, 0xffff, s3
	v_cmpx_gt_u32_e64 s12, v0
	s_cbranch_execz .LBB1_6
; %bb.4:
	s_load_b64 s[4:5], s[0:1], 0x10
	v_mov_b32_e32 v1, v0
	s_mov_b32 s7, 0
.LBB1_5:                                ; =>This Inner Loop Header: Depth=1
	s_wait_kmcnt 0x0
	global_load_u8 v2, v1, s[4:5]
	v_add_nc_u32_e32 v4, 0x100c, v1
	s_wait_xcnt 0x0
	v_add_nc_u32_e32 v1, s15, v1
	s_delay_alu instid0(VALU_DEP_1) | instskip(SKIP_4) | instid1(VALU_DEP_2)
	v_cmp_le_u32_e32 vcc_lo, s12, v1
	s_or_b32 s7, vcc_lo, s7
	s_wait_loadcnt 0x0
	v_add_nc_u16 v3, 0xffbf, v2
	v_add_nc_u16 v5, v2, 32
	v_and_b32_e32 v3, 0xff, v3
	s_delay_alu instid0(VALU_DEP_1) | instskip(NEXT) | instid1(VALU_DEP_1)
	v_cmp_gt_u16_e64 s3, 26, v3
	v_cndmask_b32_e64 v2, v2, v5, s3
	ds_store_b8 v4, v2
	s_and_not1_b32 exec_lo, exec_lo, s7
	s_cbranch_execnz .LBB1_5
.LBB1_6:
	s_or_b32 exec_lo, exec_lo, s6
	s_clause 0x1
	s_load_b64 s[10:11], s[0:1], 0x0
	s_load_b128 s[4:7], s[0:1], 0x20
	s_wait_xcnt 0x0
	s_cvt_f32_u32 s0, s15
	v_dual_mov_b32 v1, 0x100c :: v_dual_mov_b32 v10, v0
	s_wait_dscnt 0x0
	s_delay_alu instid0(SALU_CYCLE_1)
	v_rcp_iflag_f32_e32 v2, s0
	s_barrier_signal -1
	s_barrier_wait -1
	ds_load_u8 v3, v1
	ds_load_u8 v4, v1 offset:1
	s_add_co_i32 s1, s8, s9
	s_add_co_i32 s3, s12, -10
	v_nop
	v_readfirstlane_b32 s0, v2
	s_min_u32 s12, s1, s13
	s_mov_b32 s9, 0
	s_sub_co_i32 s16, s12, s8
	s_cmp_lg_u32 s3, 0
	s_mul_f32 s0, s0, 0x4f7ffffe
	s_cselect_b32 s17, -1, 0
	s_sub_co_i32 s18, 0, s15
	s_wait_kmcnt 0x0
	s_add_nc_u64 s[12:13], s[10:11], s[8:9]
	s_cvt_u32_f32 s0, s0
	s_mov_b32 s1, s9
	s_add_nc_u64 s[12:13], s[12:13], 10
	s_mov_b32 s19, s9
	s_mul_i32 s18, s18, s0
	s_mov_b32 s20, s9
	s_mul_hi_u32 s18, s0, s18
	s_wait_dscnt 0x1
	v_and_b32_e32 v8, 0xff, v3
	s_wait_dscnt 0x0
	v_and_b32_e32 v9, 0xff, v4
	v_mov_b32_e32 v3, 0
	s_add_co_i32 s0, s0, s18
	s_add_co_i32 s18, 0x100c, 10
	s_branch .LBB1_9
.LBB1_7:                                ;   in Loop: Header=BB1_9 Depth=1
	s_or_b32 exec_lo, exec_lo, s20
	s_wait_dscnt 0x0
	v_readfirstlane_b32 s20, v5
	v_add_nc_u32_e32 v4, s8, v4
	s_delay_alu instid0(VALU_DEP_2)
	v_add3_u32 v2, s8, s20, v2
	global_store_b32 v2, v4, s[4:5] scale_offset
.LBB1_8:                                ;   in Loop: Header=BB1_9 Depth=1
	s_wait_xcnt 0x0
	s_or_b32 exec_lo, exec_lo, s19
	v_max_i32_e32 v2, v10, v12
	s_wait_storecnt 0x0
	s_barrier_signal -1
	s_barrier_wait -1
	s_delay_alu instid0(VALU_DEP_1) | instskip(NEXT) | instid1(VALU_DEP_1)
	v_mul_u64_e32 v[4:5], s[0:1], v[2:3]
	v_mul_lo_u32 v4, v5, s15
	s_delay_alu instid0(VALU_DEP_1) | instskip(NEXT) | instid1(VALU_DEP_1)
	v_sub_nc_u32_e32 v2, v2, v4
	v_subrev_nc_u32_e32 v4, s15, v2
	v_cmp_le_u32_e32 vcc_lo, s15, v2
	s_delay_alu instid0(VALU_DEP_2) | instskip(SKIP_3) | instid1(VALU_DEP_2)
	v_cndmask_b32_e32 v2, v2, v4, vcc_lo
	ds_load_b64 v[4:5], v3 offset:4096
	v_subrev_nc_u32_e32 v6, s15, v2
	v_cmp_le_u32_e32 vcc_lo, s15, v2
	v_cndmask_b32_e32 v2, v2, v6, vcc_lo
	s_delay_alu instid0(VALU_DEP_1) | instskip(NEXT) | instid1(VALU_DEP_1)
	v_xor_b32_e32 v2, v2, v11
	v_sub_nc_u32_e32 v2, v11, v2
	s_wait_dscnt 0x0
	v_readfirstlane_b32 s19, v4
	v_readfirstlane_b32 s20, v5
	s_delay_alu instid0(VALU_DEP_3) | instskip(SKIP_3) | instid1(VALU_DEP_1)
	v_add_nc_u32_e32 v2, v10, v2
	s_or_b32 s19, s19, s20
	s_mov_b32 s20, 0
	s_cmp_eq_u32 s19, 0
	v_cmp_le_u32_e32 vcc_lo, s16, v2
	s_cselect_b32 s19, -1, 0
	s_delay_alu instid0(SALU_CYCLE_1) | instskip(NEXT) | instid1(SALU_CYCLE_1)
	s_and_b32 s19, s19, vcc_lo
	s_and_b32 s19, exec_lo, s19
	s_delay_alu instid0(SALU_CYCLE_1)
	s_or_b32 s9, s19, s9
	s_mov_b32 s19, 0
	s_and_not1_b32 exec_lo, exec_lo, s9
	s_cbranch_execz .LBB1_47
.LBB1_9:                                ; =>This Loop Header: Depth=1
                                        ;     Child Loop BB1_40 Depth 2
	s_mov_b32 s21, exec_lo
	v_cmpx_gt_u32_e64 s16, v10
	s_cbranch_execz .LBB1_15
; %bb.10:                               ;   in Loop: Header=BB1_9 Depth=1
	v_add_nc_u32_e32 v2, s8, v10
	global_load_u8 v4, v2, s[10:11]
	s_wait_loadcnt 0x0
	v_add_nc_u16 v5, 0xffbf, v4
	v_add_nc_u16 v6, v4, 32
	s_delay_alu instid0(VALU_DEP_2) | instskip(NEXT) | instid1(VALU_DEP_1)
	v_and_b32_e32 v5, 0xff, v5
	v_cmp_gt_u16_e32 vcc_lo, 26, v5
	s_delay_alu instid0(VALU_DEP_3) | instskip(NEXT) | instid1(VALU_DEP_1)
	v_cndmask_b32_e32 v4, v4, v6, vcc_lo
	v_and_b32_e32 v4, 0xff, v4
	s_delay_alu instid0(VALU_DEP_1)
	v_cmp_eq_u16_e32 vcc_lo, v8, v4
	s_and_b32 exec_lo, exec_lo, vcc_lo
	s_cbranch_execz .LBB1_15
; %bb.11:                               ;   in Loop: Header=BB1_9 Depth=1
	v_add_nc_u32_e32 v2, 1, v2
	global_load_u8 v2, v2, s[10:11]
	s_wait_loadcnt 0x0
	v_add_nc_u16 v4, 0xffbf, v2
	v_add_nc_u16 v5, v2, 32
	s_delay_alu instid0(VALU_DEP_2) | instskip(NEXT) | instid1(VALU_DEP_1)
	v_and_b32_e32 v4, 0xff, v4
	v_cmp_gt_u16_e32 vcc_lo, 26, v4
	s_delay_alu instid0(VALU_DEP_3) | instskip(NEXT) | instid1(VALU_DEP_1)
	v_cndmask_b32_e32 v2, v2, v5, vcc_lo
	v_and_b32_e32 v2, 0xff, v2
	s_delay_alu instid0(VALU_DEP_1)
	v_cmp_eq_u16_e32 vcc_lo, v9, v2
	s_and_b32 exec_lo, exec_lo, vcc_lo
	s_cbranch_execz .LBB1_15
; %bb.12:                               ;   in Loop: Header=BB1_9 Depth=1
	s_mov_b32 s23, exec_lo
	s_mov_b32 s22, exec_lo
	v_mbcnt_lo_u32_b32 v2, s23, 0
                                        ; implicit-def: $vgpr4
	s_delay_alu instid0(VALU_DEP_1)
	v_cmpx_eq_u32_e32 0, v2
; %bb.13:                               ;   in Loop: Header=BB1_9 Depth=1
	s_bcnt1_i32_b32 s23, s23
	s_delay_alu instid0(SALU_CYCLE_1)
	v_mov_b32_e32 v4, s23
	ds_add_rtn_u32 v4, v3, v4 offset:4096
; %bb.14:                               ;   in Loop: Header=BB1_9 Depth=1
	s_or_b32 exec_lo, exec_lo, s22
	s_wait_dscnt 0x0
	v_readfirstlane_b32 s22, v4
	s_delay_alu instid0(VALU_DEP_1)
	v_add_lshl_u32 v2, s22, v2, 2
	ds_store_b32 v2, v10
.LBB1_15:                               ;   in Loop: Header=BB1_9 Depth=1
	s_or_b32 exec_lo, exec_lo, s21
	s_wait_dscnt 0x0
	s_barrier_signal -1
	s_barrier_wait -1
	ds_load_b32 v4, v3 offset:4096
	v_add_nc_u32_e32 v10, s15, v10
	s_mov_b32 s21, -1
	s_wait_dscnt 0x0
	s_barrier_signal -1
	s_barrier_wait -1
	v_cmp_le_u32_e32 vcc_lo, s15, v4
	s_cbranch_vccz .LBB1_42
; %bb.16:                               ;   in Loop: Header=BB1_9 Depth=1
	s_and_b32 s21, exec_lo, s21
	s_delay_alu instid0(SALU_CYCLE_1) | instskip(NEXT) | instid1(SALU_CYCLE_1)
	s_or_b32 s20, s21, s20
	s_and_not1_b32 exec_lo, exec_lo, s20
	s_cbranch_execnz .LBB1_9
.LBB1_17:                               ;   in Loop: Header=BB1_9 Depth=1
	s_or_b32 exec_lo, exec_lo, s20
	s_delay_alu instid0(SALU_CYCLE_1)
	s_mov_b32 s20, exec_lo
	v_cmpx_lt_u32_e64 v0, v4
	s_cbranch_execz .LBB1_31
; %bb.18:                               ;   in Loop: Header=BB1_9 Depth=1
	s_mov_b32 s22, exec_lo
	s_mov_b32 s21, exec_lo
	v_mbcnt_lo_u32_b32 v2, s22, 0
                                        ; implicit-def: $vgpr4
	s_delay_alu instid0(VALU_DEP_1)
	v_cmpx_eq_u32_e32 0, v2
; %bb.19:                               ;   in Loop: Header=BB1_9 Depth=1
	s_bcnt1_i32_b32 s22, s22
	s_delay_alu instid0(SALU_CYCLE_1) | instskip(NEXT) | instid1(SALU_CYCLE_1)
	s_sub_co_i32 s22, 0, s22
	v_mov_b32_e32 v4, s22
	ds_add_rtn_u32 v4, v3, v4 offset:4096
; %bb.20:                               ;   in Loop: Header=BB1_9 Depth=1
	s_or_b32 exec_lo, exec_lo, s21
	s_wait_dscnt 0x0
	v_readfirstlane_b32 s21, v4
	ds_load_u8 v7, v1 offset:2
	v_sub_nc_u32_e32 v2, s21, v2
	s_delay_alu instid0(VALU_DEP_1) | instskip(SKIP_3) | instid1(VALU_DEP_1)
	v_lshl_add_u32 v2, v2, 2, -4
	ds_load_b32 v2, v2
	s_wait_dscnt 0x0
	v_add_nc_u32_e32 v4, s8, v2
	v_add_nc_u32_e32 v5, 2, v4
	global_load_u8 v5, v5, s[10:11]
	s_wait_loadcnt 0x0
	v_add_nc_u16 v6, 0xffbf, v5
	v_add_nc_u16 v11, v5, 32
	s_delay_alu instid0(VALU_DEP_2) | instskip(NEXT) | instid1(VALU_DEP_1)
	v_and_b32_e32 v6, 0xff, v6
	v_cmp_gt_u16_e32 vcc_lo, 26, v6
	s_delay_alu instid0(VALU_DEP_3) | instskip(NEXT) | instid1(VALU_DEP_1)
	v_cndmask_b32_e32 v5, v5, v11, vcc_lo
	v_and_b32_e32 v5, 0xff, v5
	s_delay_alu instid0(VALU_DEP_1)
	v_cmp_eq_u16_e32 vcc_lo, v7, v5
	s_and_b32 exec_lo, exec_lo, vcc_lo
	s_cbranch_execz .LBB1_31
; %bb.21:                               ;   in Loop: Header=BB1_9 Depth=1
	v_add_nc_u32_e32 v5, 3, v4
	ds_load_u8 v7, v1 offset:3
	global_load_u8 v5, v5, s[10:11]
	s_wait_loadcnt 0x0
	v_add_nc_u16 v6, 0xffbf, v5
	v_add_nc_u16 v11, v5, 32
	s_delay_alu instid0(VALU_DEP_2) | instskip(NEXT) | instid1(VALU_DEP_1)
	v_and_b32_e32 v6, 0xff, v6
	v_cmp_gt_u16_e32 vcc_lo, 26, v6
	s_delay_alu instid0(VALU_DEP_3) | instskip(NEXT) | instid1(VALU_DEP_1)
	v_cndmask_b32_e32 v5, v5, v11, vcc_lo
	v_and_b32_e32 v5, 0xff, v5
	s_wait_dscnt 0x0
	s_delay_alu instid0(VALU_DEP_1)
	v_cmp_eq_u16_e32 vcc_lo, v7, v5
	s_and_b32 exec_lo, exec_lo, vcc_lo
	s_cbranch_execz .LBB1_31
; %bb.22:                               ;   in Loop: Header=BB1_9 Depth=1
	v_add_nc_u32_e32 v5, 4, v4
	ds_load_u8 v7, v1 offset:4
	global_load_u8 v5, v5, s[10:11]
	s_wait_loadcnt 0x0
	v_add_nc_u16 v6, 0xffbf, v5
	v_add_nc_u16 v11, v5, 32
	s_delay_alu instid0(VALU_DEP_2) | instskip(NEXT) | instid1(VALU_DEP_1)
	v_and_b32_e32 v6, 0xff, v6
	v_cmp_gt_u16_e32 vcc_lo, 26, v6
	s_delay_alu instid0(VALU_DEP_3) | instskip(NEXT) | instid1(VALU_DEP_1)
	v_cndmask_b32_e32 v5, v5, v11, vcc_lo
	v_and_b32_e32 v5, 0xff, v5
	s_wait_dscnt 0x0
	;; [unrolled: 18-line block ×7, first 2 shown]
	s_delay_alu instid0(VALU_DEP_1)
	v_cmp_eq_u16_e32 vcc_lo, v6, v4
	s_and_b32 exec_lo, exec_lo, vcc_lo
	s_cbranch_execz .LBB1_31
; %bb.28:                               ;   in Loop: Header=BB1_9 Depth=1
	s_mov_b32 s22, exec_lo
	s_mov_b32 s21, exec_lo
	v_mbcnt_lo_u32_b32 v4, s22, 0
                                        ; implicit-def: $vgpr5
	s_delay_alu instid0(VALU_DEP_1)
	v_cmpx_eq_u32_e32 0, v4
; %bb.29:                               ;   in Loop: Header=BB1_9 Depth=1
	s_bcnt1_i32_b32 s22, s22
	s_delay_alu instid0(SALU_CYCLE_1)
	v_mov_b32_e32 v5, s22
	ds_add_rtn_u32 v5, v3, v5 offset:4100
; %bb.30:                               ;   in Loop: Header=BB1_9 Depth=1
	s_or_b32 exec_lo, exec_lo, s21
	s_wait_dscnt 0x0
	v_readfirstlane_b32 s21, v5
	s_delay_alu instid0(VALU_DEP_1)
	v_add_lshl_u32 v4, s21, v4, 2
	ds_store_b32 v4, v2 offset:2048
.LBB1_31:                               ;   in Loop: Header=BB1_9 Depth=1
	s_or_b32 exec_lo, exec_lo, s20
	s_wait_dscnt 0x0
	s_barrier_signal -1
	s_barrier_wait -1
	ds_load_b32 v4, v3 offset:4100
	v_dual_ashrrev_i32 v11, 31, v10 :: v_dual_sub_nc_u32 v12, 0, v10
	s_mov_b32 s20, -1
	s_wait_dscnt 0x0
	s_barrier_signal -1
	s_barrier_wait -1
	v_cmp_le_u32_e32 vcc_lo, s15, v4
	s_cbranch_vccnz .LBB1_33
; %bb.32:                               ;   in Loop: Header=BB1_9 Depth=1
	v_max_i32_e32 v2, v10, v12
	s_delay_alu instid0(VALU_DEP_1) | instskip(NEXT) | instid1(VALU_DEP_1)
	v_mul_u64_e32 v[6:7], s[0:1], v[2:3]
	v_mul_lo_u32 v5, v7, s15
	s_delay_alu instid0(VALU_DEP_1) | instskip(NEXT) | instid1(VALU_DEP_1)
	v_sub_nc_u32_e32 v2, v2, v5
	v_subrev_nc_u32_e32 v5, s15, v2
	v_cmp_le_u32_e32 vcc_lo, s15, v2
	s_delay_alu instid0(VALU_DEP_2) | instskip(NEXT) | instid1(VALU_DEP_1)
	v_cndmask_b32_e32 v2, v2, v5, vcc_lo
	v_subrev_nc_u32_e32 v5, s15, v2
	v_cmp_le_u32_e32 vcc_lo, s15, v2
	s_delay_alu instid0(VALU_DEP_2) | instskip(NEXT) | instid1(VALU_DEP_1)
	v_cndmask_b32_e32 v2, v2, v5, vcc_lo
	v_xor_b32_e32 v2, v2, v11
	s_delay_alu instid0(VALU_DEP_1) | instskip(NEXT) | instid1(VALU_DEP_1)
	v_sub_nc_u32_e32 v2, v11, v2
	v_add_nc_u32_e32 v2, v10, v2
	s_delay_alu instid0(VALU_DEP_1)
	v_cmp_le_u32_e32 vcc_lo, s16, v2
	s_or_not1_b32 s20, vcc_lo, exec_lo
.LBB1_33:                               ;   in Loop: Header=BB1_9 Depth=1
	s_delay_alu instid0(SALU_CYCLE_1) | instskip(NEXT) | instid1(SALU_CYCLE_1)
	s_and_b32 s20, exec_lo, s20
	s_or_b32 s19, s20, s19
	s_mov_b32 s20, 0
	s_and_not1_b32 exec_lo, exec_lo, s19
	s_cbranch_execnz .LBB1_9
; %bb.34:                               ;   in Loop: Header=BB1_9 Depth=1
	s_or_b32 exec_lo, exec_lo, s19
	s_delay_alu instid0(SALU_CYCLE_1)
	s_mov_b32 s19, exec_lo
	v_cmpx_lt_u32_e64 v0, v4
	s_cbranch_execz .LBB1_8
; %bb.35:                               ;   in Loop: Header=BB1_9 Depth=1
	s_mov_b32 s21, exec_lo
	s_mov_b32 s20, exec_lo
	v_mbcnt_lo_u32_b32 v2, s21, 0
                                        ; implicit-def: $vgpr4
	s_delay_alu instid0(VALU_DEP_1)
	v_cmpx_eq_u32_e32 0, v2
; %bb.36:                               ;   in Loop: Header=BB1_9 Depth=1
	s_bcnt1_i32_b32 s21, s21
	s_delay_alu instid0(SALU_CYCLE_1) | instskip(NEXT) | instid1(SALU_CYCLE_1)
	s_sub_co_i32 s21, 0, s21
	v_mov_b32_e32 v4, s21
	ds_add_rtn_u32 v4, v3, v4 offset:4100
; %bb.37:                               ;   in Loop: Header=BB1_9 Depth=1
	s_or_b32 exec_lo, exec_lo, s20
	s_wait_dscnt 0x0
	v_readfirstlane_b32 s20, v4
	s_and_not1_b32 vcc_lo, exec_lo, s17
	v_sub_nc_u32_e32 v2, s20, v2
	s_delay_alu instid0(VALU_DEP_1)
	v_lshlrev_b32_e32 v2, 2, v2
	ds_load_b32 v4, v2 offset:2044
	s_wait_dscnt 0x0
	v_ashrrev_i32_e32 v5, 31, v4
	s_cbranch_vccnz .LBB1_44
; %bb.38:                               ;   in Loop: Header=BB1_9 Depth=1
	s_delay_alu instid0(VALU_DEP_1)
	v_add_nc_u64_e32 v[6:7], s[12:13], v[4:5]
	s_mov_b32 s20, 0
	s_mov_b32 s22, s3
	;; [unrolled: 1-line block ×3, first 2 shown]
                                        ; implicit-def: $sgpr21
                                        ; implicit-def: $sgpr25
                                        ; implicit-def: $sgpr24
	s_branch .LBB1_40
.LBB1_39:                               ;   in Loop: Header=BB1_40 Depth=2
	s_or_b32 exec_lo, exec_lo, s26
	s_xor_b32 s26, s24, -1
	s_and_b32 s27, exec_lo, s25
	s_delay_alu instid0(SALU_CYCLE_1) | instskip(SKIP_2) | instid1(SALU_CYCLE_1)
	s_or_b32 s20, s27, s20
	s_and_not1_b32 s21, s21, exec_lo
	s_and_b32 s26, s26, exec_lo
	s_or_b32 s21, s21, s26
	s_and_not1_b32 exec_lo, exec_lo, s20
	s_cbranch_execz .LBB1_43
.LBB1_40:                               ;   Parent Loop BB1_9 Depth=1
                                        ; =>  This Inner Loop Header: Depth=2
	global_load_u8 v2, v[6:7], off
	s_or_b32 s24, s24, exec_lo
	s_or_b32 s25, s25, exec_lo
	s_mov_b32 s26, exec_lo
	s_wait_loadcnt 0x0
	v_add_nc_u16 v13, 0xffbf, v2
	v_add_nc_u16 v14, v2, 32
	s_delay_alu instid0(VALU_DEP_2) | instskip(NEXT) | instid1(VALU_DEP_1)
	v_and_b32_e32 v13, 0xff, v13
	v_cmp_gt_u16_e32 vcc_lo, 26, v13
	s_delay_alu instid0(VALU_DEP_3) | instskip(SKIP_3) | instid1(VALU_DEP_1)
	v_dual_mov_b32 v5, s23 :: v_dual_cndmask_b32 v2, v2, v14
	ds_load_u8 v5, v5
	v_and_b32_e32 v2, 0xff, v2
	s_wait_dscnt 0x0
	v_cmpx_eq_u16_e64 v2, v5
	s_cbranch_execz .LBB1_39
; %bb.41:                               ;   in Loop: Header=BB1_40 Depth=2
	s_add_co_i32 s22, s22, -1
	s_add_co_i32 s23, s23, 1
	s_cmp_eq_u32 s22, 0
	v_add_nc_u64_e32 v[6:7], 1, v[6:7]
	s_cselect_b32 s27, -1, 0
	s_and_not1_b32 s25, s25, exec_lo
	s_and_b32 s27, s27, exec_lo
	s_and_not1_b32 s24, s24, exec_lo
	s_or_b32 s25, s25, s27
	s_branch .LBB1_39
.LBB1_42:                               ;   in Loop: Header=BB1_9 Depth=1
	v_sub_nc_u32_e32 v2, 0, v10
	s_delay_alu instid0(VALU_DEP_1) | instskip(NEXT) | instid1(VALU_DEP_1)
	v_max_i32_e32 v2, v10, v2
	v_mul_u64_e32 v[6:7], s[0:1], v[2:3]
	v_ashrrev_i32_e32 v6, 31, v10
	s_delay_alu instid0(VALU_DEP_2) | instskip(NEXT) | instid1(VALU_DEP_1)
	v_mul_lo_u32 v5, v7, s15
	v_sub_nc_u32_e32 v2, v2, v5
	s_delay_alu instid0(VALU_DEP_1) | instskip(SKIP_1) | instid1(VALU_DEP_2)
	v_subrev_nc_u32_e32 v5, s15, v2
	v_cmp_le_u32_e32 vcc_lo, s15, v2
	v_cndmask_b32_e32 v2, v2, v5, vcc_lo
	s_delay_alu instid0(VALU_DEP_1) | instskip(SKIP_1) | instid1(VALU_DEP_2)
	v_subrev_nc_u32_e32 v5, s15, v2
	v_cmp_le_u32_e32 vcc_lo, s15, v2
	v_cndmask_b32_e32 v2, v2, v5, vcc_lo
	s_delay_alu instid0(VALU_DEP_1) | instskip(NEXT) | instid1(VALU_DEP_1)
	v_xor_b32_e32 v2, v2, v6
	v_sub_nc_u32_e32 v2, v6, v2
	s_delay_alu instid0(VALU_DEP_1) | instskip(NEXT) | instid1(VALU_DEP_1)
	v_add_nc_u32_e32 v2, v10, v2
	v_cmp_le_u32_e32 vcc_lo, s16, v2
	s_or_not1_b32 s21, vcc_lo, exec_lo
	s_delay_alu instid0(SALU_CYCLE_1) | instskip(NEXT) | instid1(SALU_CYCLE_1)
	s_and_b32 s21, exec_lo, s21
	s_or_b32 s20, s21, s20
	s_delay_alu instid0(SALU_CYCLE_1)
	s_and_not1_b32 exec_lo, exec_lo, s20
	s_cbranch_execnz .LBB1_9
	s_branch .LBB1_17
.LBB1_43:                               ;   in Loop: Header=BB1_9 Depth=1
	s_or_b32 exec_lo, exec_lo, s20
	s_delay_alu instid0(SALU_CYCLE_1)
	s_and_b32 exec_lo, exec_lo, s21
	s_cbranch_execz .LBB1_8
	s_branch .LBB1_45
.LBB1_44:                               ;   in Loop: Header=BB1_9 Depth=1
	s_mov_b32 s21, -1
	s_delay_alu instid0(SALU_CYCLE_1)
	s_and_b32 exec_lo, exec_lo, s21
	s_cbranch_execz .LBB1_8
.LBB1_45:                               ;   in Loop: Header=BB1_9 Depth=1
	s_mov_b32 s21, exec_lo
	s_mov_b32 s20, exec_lo
	v_mbcnt_lo_u32_b32 v2, s21, 0
                                        ; implicit-def: $vgpr5
	s_delay_alu instid0(VALU_DEP_1)
	v_cmpx_eq_u32_e32 0, v2
	s_cbranch_execz .LBB1_7
; %bb.46:                               ;   in Loop: Header=BB1_9 Depth=1
	s_bcnt1_i32_b32 s21, s21
	s_delay_alu instid0(SALU_CYCLE_1)
	v_mov_b32_e32 v5, s21
	ds_add_rtn_u32 v5, v3, v5 offset:4104
	s_branch .LBB1_7
.LBB1_47:
	s_or_b32 exec_lo, exec_lo, s9
	s_and_saveexec_b32 s0, s2
	s_cbranch_execz .LBB1_49
; %bb.48:
	v_dual_mov_b32 v0, 0 :: v_dual_mov_b32 v1, s14
	ds_load_b32 v0, v0 offset:4104
	s_wait_dscnt 0x0
	global_store_b32 v1, v0, s[6:7] scale_offset
.LBB1_49:
	s_endpgm
	.section	.rodata,"a",@progbits
	.p2align	6, 0x0
	.amdhsa_kernel _Z23StringSearchLoadBalancePKhjS0_jPjS1_j
		.amdhsa_group_segment_fixed_size 4108
		.amdhsa_private_segment_fixed_size 0
		.amdhsa_kernarg_size 312
		.amdhsa_user_sgpr_count 2
		.amdhsa_user_sgpr_dispatch_ptr 0
		.amdhsa_user_sgpr_queue_ptr 0
		.amdhsa_user_sgpr_kernarg_segment_ptr 1
		.amdhsa_user_sgpr_dispatch_id 0
		.amdhsa_user_sgpr_kernarg_preload_length 0
		.amdhsa_user_sgpr_kernarg_preload_offset 0
		.amdhsa_user_sgpr_private_segment_size 0
		.amdhsa_wavefront_size32 1
		.amdhsa_uses_dynamic_stack 0
		.amdhsa_enable_private_segment 0
		.amdhsa_system_sgpr_workgroup_id_x 1
		.amdhsa_system_sgpr_workgroup_id_y 0
		.amdhsa_system_sgpr_workgroup_id_z 0
		.amdhsa_system_sgpr_workgroup_info 0
		.amdhsa_system_vgpr_workitem_id 0
		.amdhsa_next_free_vgpr 15
		.amdhsa_next_free_sgpr 28
		.amdhsa_named_barrier_count 0
		.amdhsa_reserve_vcc 1
		.amdhsa_float_round_mode_32 0
		.amdhsa_float_round_mode_16_64 0
		.amdhsa_float_denorm_mode_32 3
		.amdhsa_float_denorm_mode_16_64 3
		.amdhsa_fp16_overflow 0
		.amdhsa_memory_ordered 1
		.amdhsa_forward_progress 1
		.amdhsa_inst_pref_size 22
		.amdhsa_round_robin_scheduling 0
		.amdhsa_exception_fp_ieee_invalid_op 0
		.amdhsa_exception_fp_denorm_src 0
		.amdhsa_exception_fp_ieee_div_zero 0
		.amdhsa_exception_fp_ieee_overflow 0
		.amdhsa_exception_fp_ieee_underflow 0
		.amdhsa_exception_fp_ieee_inexact 0
		.amdhsa_exception_int_div_zero 0
	.end_amdhsa_kernel
	.text
.Lfunc_end1:
	.size	_Z23StringSearchLoadBalancePKhjS0_jPjS1_j, .Lfunc_end1-_Z23StringSearchLoadBalancePKhjS0_jPjS1_j
                                        ; -- End function
	.set _Z23StringSearchLoadBalancePKhjS0_jPjS1_j.num_vgpr, 15
	.set _Z23StringSearchLoadBalancePKhjS0_jPjS1_j.num_agpr, 0
	.set _Z23StringSearchLoadBalancePKhjS0_jPjS1_j.numbered_sgpr, 28
	.set _Z23StringSearchLoadBalancePKhjS0_jPjS1_j.num_named_barrier, 0
	.set _Z23StringSearchLoadBalancePKhjS0_jPjS1_j.private_seg_size, 0
	.set _Z23StringSearchLoadBalancePKhjS0_jPjS1_j.uses_vcc, 1
	.set _Z23StringSearchLoadBalancePKhjS0_jPjS1_j.uses_flat_scratch, 0
	.set _Z23StringSearchLoadBalancePKhjS0_jPjS1_j.has_dyn_sized_stack, 0
	.set _Z23StringSearchLoadBalancePKhjS0_jPjS1_j.has_recursion, 0
	.set _Z23StringSearchLoadBalancePKhjS0_jPjS1_j.has_indirect_call, 0
	.section	.AMDGPU.csdata,"",@progbits
; Kernel info:
; codeLenInByte = 2808
; TotalNumSgprs: 30
; NumVgprs: 15
; ScratchSize: 0
; MemoryBound: 0
; FloatMode: 240
; IeeeMode: 1
; LDSByteSize: 4108 bytes/workgroup (compile time only)
; SGPRBlocks: 0
; VGPRBlocks: 0
; NumSGPRsForWavesPerEU: 30
; NumVGPRsForWavesPerEU: 15
; NamedBarCnt: 0
; Occupancy: 16
; WaveLimiterHint : 0
; COMPUTE_PGM_RSRC2:SCRATCH_EN: 0
; COMPUTE_PGM_RSRC2:USER_SGPR: 2
; COMPUTE_PGM_RSRC2:TRAP_HANDLER: 0
; COMPUTE_PGM_RSRC2:TGID_X_EN: 1
; COMPUTE_PGM_RSRC2:TGID_Y_EN: 0
; COMPUTE_PGM_RSRC2:TGID_Z_EN: 0
; COMPUTE_PGM_RSRC2:TIDIG_COMP_CNT: 0
	.text
	.p2alignl 7, 3214868480
	.fill 96, 4, 3214868480
	.section	.AMDGPU.gpr_maximums,"",@progbits
	.set amdgpu.max_num_vgpr, 0
	.set amdgpu.max_num_agpr, 0
	.set amdgpu.max_num_sgpr, 0
	.text
	.type	__hip_cuid_7474313aeb4c050c,@object ; @__hip_cuid_7474313aeb4c050c
	.section	.bss,"aw",@nobits
	.globl	__hip_cuid_7474313aeb4c050c
__hip_cuid_7474313aeb4c050c:
	.byte	0                               ; 0x0
	.size	__hip_cuid_7474313aeb4c050c, 1

	.ident	"AMD clang version 22.0.0git (https://github.com/RadeonOpenCompute/llvm-project roc-7.2.4 26084 f58b06dce1f9c15707c5f808fd002e18c2accf7e)"
	.section	".note.GNU-stack","",@progbits
	.addrsig
	.addrsig_sym __hip_cuid_7474313aeb4c050c
	.amdgpu_metadata
---
amdhsa.kernels:
  - .args:
      - .address_space:  global
        .offset:         0
        .size:           8
        .value_kind:     global_buffer
      - .offset:         8
        .size:           4
        .value_kind:     by_value
      - .address_space:  global
        .offset:         16
        .size:           8
        .value_kind:     global_buffer
      - .offset:         24
        .size:           4
        .value_kind:     by_value
      - .address_space:  global
        .offset:         32
        .size:           8
        .value_kind:     global_buffer
      - .address_space:  global
        .offset:         40
        .size:           8
        .value_kind:     global_buffer
      - .offset:         48
        .size:           4
        .value_kind:     by_value
      - .offset:         56
        .size:           4
        .value_kind:     hidden_block_count_x
      - .offset:         60
        .size:           4
        .value_kind:     hidden_block_count_y
      - .offset:         64
        .size:           4
        .value_kind:     hidden_block_count_z
      - .offset:         68
        .size:           2
        .value_kind:     hidden_group_size_x
      - .offset:         70
        .size:           2
        .value_kind:     hidden_group_size_y
      - .offset:         72
        .size:           2
        .value_kind:     hidden_group_size_z
      - .offset:         74
        .size:           2
        .value_kind:     hidden_remainder_x
      - .offset:         76
        .size:           2
        .value_kind:     hidden_remainder_y
      - .offset:         78
        .size:           2
        .value_kind:     hidden_remainder_z
      - .offset:         96
        .size:           8
        .value_kind:     hidden_global_offset_x
      - .offset:         104
        .size:           8
        .value_kind:     hidden_global_offset_y
      - .offset:         112
        .size:           8
        .value_kind:     hidden_global_offset_z
      - .offset:         120
        .size:           2
        .value_kind:     hidden_grid_dims
      - .offset:         176
        .size:           4
        .value_kind:     hidden_dynamic_lds_size
    .group_segment_fixed_size: 4
    .kernarg_segment_align: 8
    .kernarg_segment_size: 312
    .language:       OpenCL C
    .language_version:
      - 2
      - 0
    .max_flat_workgroup_size: 1024
    .name:           _Z17StringSearchNaivePKhjS0_jPjS1_j
    .private_segment_fixed_size: 0
    .sgpr_count:     25
    .sgpr_spill_count: 0
    .symbol:         _Z17StringSearchNaivePKhjS0_jPjS1_j.kd
    .uniform_work_group_size: 1
    .uses_dynamic_stack: false
    .vgpr_count:     50
    .vgpr_spill_count: 0
    .wavefront_size: 32
  - .args:
      - .address_space:  global
        .offset:         0
        .size:           8
        .value_kind:     global_buffer
      - .offset:         8
        .size:           4
        .value_kind:     by_value
      - .address_space:  global
        .offset:         16
        .size:           8
        .value_kind:     global_buffer
      - .offset:         24
        .size:           4
        .value_kind:     by_value
      - .address_space:  global
        .offset:         32
        .size:           8
        .value_kind:     global_buffer
      - .address_space:  global
        .offset:         40
        .size:           8
        .value_kind:     global_buffer
      - .offset:         48
        .size:           4
        .value_kind:     by_value
      - .offset:         56
        .size:           4
        .value_kind:     hidden_block_count_x
      - .offset:         60
        .size:           4
        .value_kind:     hidden_block_count_y
      - .offset:         64
        .size:           4
        .value_kind:     hidden_block_count_z
      - .offset:         68
        .size:           2
        .value_kind:     hidden_group_size_x
      - .offset:         70
        .size:           2
        .value_kind:     hidden_group_size_y
      - .offset:         72
        .size:           2
        .value_kind:     hidden_group_size_z
      - .offset:         74
        .size:           2
        .value_kind:     hidden_remainder_x
      - .offset:         76
        .size:           2
        .value_kind:     hidden_remainder_y
      - .offset:         78
        .size:           2
        .value_kind:     hidden_remainder_z
      - .offset:         96
        .size:           8
        .value_kind:     hidden_global_offset_x
      - .offset:         104
        .size:           8
        .value_kind:     hidden_global_offset_y
      - .offset:         112
        .size:           8
        .value_kind:     hidden_global_offset_z
      - .offset:         120
        .size:           2
        .value_kind:     hidden_grid_dims
      - .offset:         176
        .size:           4
        .value_kind:     hidden_dynamic_lds_size
    .group_segment_fixed_size: 4108
    .kernarg_segment_align: 8
    .kernarg_segment_size: 312
    .language:       OpenCL C
    .language_version:
      - 2
      - 0
    .max_flat_workgroup_size: 1024
    .name:           _Z23StringSearchLoadBalancePKhjS0_jPjS1_j
    .private_segment_fixed_size: 0
    .sgpr_count:     30
    .sgpr_spill_count: 0
    .symbol:         _Z23StringSearchLoadBalancePKhjS0_jPjS1_j.kd
    .uniform_work_group_size: 1
    .uses_dynamic_stack: false
    .vgpr_count:     15
    .vgpr_spill_count: 0
    .wavefront_size: 32
amdhsa.target:   amdgcn-amd-amdhsa--gfx1250
amdhsa.version:
  - 1
  - 2
...

	.end_amdgpu_metadata
